;; amdgpu-corpus repo=ROCm/rocFFT kind=compiled arch=gfx1030 opt=O3
	.text
	.amdgcn_target "amdgcn-amd-amdhsa--gfx1030"
	.amdhsa_code_object_version 6
	.protected	fft_rtc_back_len1053_factors_3_3_13_3_3_wgs_117_tpt_117_halfLds_half_op_CI_CI_unitstride_sbrr_dirReg ; -- Begin function fft_rtc_back_len1053_factors_3_3_13_3_3_wgs_117_tpt_117_halfLds_half_op_CI_CI_unitstride_sbrr_dirReg
	.globl	fft_rtc_back_len1053_factors_3_3_13_3_3_wgs_117_tpt_117_halfLds_half_op_CI_CI_unitstride_sbrr_dirReg
	.p2align	8
	.type	fft_rtc_back_len1053_factors_3_3_13_3_3_wgs_117_tpt_117_halfLds_half_op_CI_CI_unitstride_sbrr_dirReg,@function
fft_rtc_back_len1053_factors_3_3_13_3_3_wgs_117_tpt_117_halfLds_half_op_CI_CI_unitstride_sbrr_dirReg: ; @fft_rtc_back_len1053_factors_3_3_13_3_3_wgs_117_tpt_117_halfLds_half_op_CI_CI_unitstride_sbrr_dirReg
; %bb.0:
	s_clause 0x2
	s_load_dwordx4 s[12:15], s[4:5], 0x0
	s_load_dwordx4 s[8:11], s[4:5], 0x58
	;; [unrolled: 1-line block ×3, first 2 shown]
	v_mul_u32_u24_e32 v1, 0x231, v0
	v_mov_b32_e32 v7, 0
	v_mov_b32_e32 v5, 0
	;; [unrolled: 1-line block ×3, first 2 shown]
	v_add_nc_u32_sdwa v9, s6, v1 dst_sel:DWORD dst_unused:UNUSED_PAD src0_sel:DWORD src1_sel:WORD_1
	v_mov_b32_e32 v10, v7
	s_waitcnt lgkmcnt(0)
	v_cmp_lt_u64_e64 s0, s[14:15], 2
	s_and_b32 vcc_lo, exec_lo, s0
	s_cbranch_vccnz .LBB0_8
; %bb.1:
	s_load_dwordx2 s[0:1], s[4:5], 0x10
	v_mov_b32_e32 v5, 0
	v_mov_b32_e32 v6, 0
	s_add_u32 s2, s18, 8
	s_addc_u32 s3, s19, 0
	v_mov_b32_e32 v1, v5
	s_add_u32 s6, s16, 8
	v_mov_b32_e32 v2, v6
	s_addc_u32 s7, s17, 0
	s_mov_b64 s[22:23], 1
	s_waitcnt lgkmcnt(0)
	s_add_u32 s20, s0, 8
	s_addc_u32 s21, s1, 0
.LBB0_2:                                ; =>This Inner Loop Header: Depth=1
	s_load_dwordx2 s[24:25], s[20:21], 0x0
                                        ; implicit-def: $vgpr3_vgpr4
	s_mov_b32 s0, exec_lo
	s_waitcnt lgkmcnt(0)
	v_or_b32_e32 v8, s25, v10
	v_cmpx_ne_u64_e32 0, v[7:8]
	s_xor_b32 s1, exec_lo, s0
	s_cbranch_execz .LBB0_4
; %bb.3:                                ;   in Loop: Header=BB0_2 Depth=1
	v_cvt_f32_u32_e32 v3, s24
	v_cvt_f32_u32_e32 v4, s25
	s_sub_u32 s0, 0, s24
	s_subb_u32 s26, 0, s25
	v_fmac_f32_e32 v3, 0x4f800000, v4
	v_rcp_f32_e32 v3, v3
	v_mul_f32_e32 v3, 0x5f7ffffc, v3
	v_mul_f32_e32 v4, 0x2f800000, v3
	v_trunc_f32_e32 v4, v4
	v_fmac_f32_e32 v3, 0xcf800000, v4
	v_cvt_u32_f32_e32 v4, v4
	v_cvt_u32_f32_e32 v3, v3
	v_mul_lo_u32 v8, s0, v4
	v_mul_hi_u32 v11, s0, v3
	v_mul_lo_u32 v12, s26, v3
	v_add_nc_u32_e32 v8, v11, v8
	v_mul_lo_u32 v11, s0, v3
	v_add_nc_u32_e32 v8, v8, v12
	v_mul_hi_u32 v12, v3, v11
	v_mul_lo_u32 v13, v3, v8
	v_mul_hi_u32 v14, v3, v8
	v_mul_hi_u32 v15, v4, v11
	v_mul_lo_u32 v11, v4, v11
	v_mul_hi_u32 v16, v4, v8
	v_mul_lo_u32 v8, v4, v8
	v_add_co_u32 v12, vcc_lo, v12, v13
	v_add_co_ci_u32_e32 v13, vcc_lo, 0, v14, vcc_lo
	v_add_co_u32 v11, vcc_lo, v12, v11
	v_add_co_ci_u32_e32 v11, vcc_lo, v13, v15, vcc_lo
	v_add_co_ci_u32_e32 v12, vcc_lo, 0, v16, vcc_lo
	v_add_co_u32 v8, vcc_lo, v11, v8
	v_add_co_ci_u32_e32 v11, vcc_lo, 0, v12, vcc_lo
	v_add_co_u32 v3, vcc_lo, v3, v8
	v_add_co_ci_u32_e32 v4, vcc_lo, v4, v11, vcc_lo
	v_mul_hi_u32 v8, s0, v3
	v_mul_lo_u32 v12, s26, v3
	v_mul_lo_u32 v11, s0, v4
	v_add_nc_u32_e32 v8, v8, v11
	v_mul_lo_u32 v11, s0, v3
	v_add_nc_u32_e32 v8, v8, v12
	v_mul_hi_u32 v12, v3, v11
	v_mul_lo_u32 v13, v3, v8
	v_mul_hi_u32 v14, v3, v8
	v_mul_hi_u32 v15, v4, v11
	v_mul_lo_u32 v11, v4, v11
	v_mul_hi_u32 v16, v4, v8
	v_mul_lo_u32 v8, v4, v8
	v_add_co_u32 v12, vcc_lo, v12, v13
	v_add_co_ci_u32_e32 v13, vcc_lo, 0, v14, vcc_lo
	v_add_co_u32 v11, vcc_lo, v12, v11
	v_add_co_ci_u32_e32 v11, vcc_lo, v13, v15, vcc_lo
	v_add_co_ci_u32_e32 v12, vcc_lo, 0, v16, vcc_lo
	v_add_co_u32 v8, vcc_lo, v11, v8
	v_add_co_ci_u32_e32 v11, vcc_lo, 0, v12, vcc_lo
	v_add_co_u32 v8, vcc_lo, v3, v8
	v_add_co_ci_u32_e32 v13, vcc_lo, v4, v11, vcc_lo
	v_mul_hi_u32 v15, v9, v8
	v_mad_u64_u32 v[11:12], null, v10, v8, 0
	v_mad_u64_u32 v[3:4], null, v9, v13, 0
	;; [unrolled: 1-line block ×3, first 2 shown]
	v_add_co_u32 v3, vcc_lo, v15, v3
	v_add_co_ci_u32_e32 v4, vcc_lo, 0, v4, vcc_lo
	v_add_co_u32 v3, vcc_lo, v3, v11
	v_add_co_ci_u32_e32 v3, vcc_lo, v4, v12, vcc_lo
	v_add_co_ci_u32_e32 v4, vcc_lo, 0, v14, vcc_lo
	v_add_co_u32 v8, vcc_lo, v3, v13
	v_add_co_ci_u32_e32 v11, vcc_lo, 0, v4, vcc_lo
	v_mul_lo_u32 v12, s25, v8
	v_mad_u64_u32 v[3:4], null, s24, v8, 0
	v_mul_lo_u32 v13, s24, v11
	v_sub_co_u32 v3, vcc_lo, v9, v3
	v_add3_u32 v4, v4, v13, v12
	v_sub_nc_u32_e32 v12, v10, v4
	v_subrev_co_ci_u32_e64 v12, s0, s25, v12, vcc_lo
	v_add_co_u32 v13, s0, v8, 2
	v_add_co_ci_u32_e64 v14, s0, 0, v11, s0
	v_sub_co_u32 v15, s0, v3, s24
	v_sub_co_ci_u32_e32 v4, vcc_lo, v10, v4, vcc_lo
	v_subrev_co_ci_u32_e64 v12, s0, 0, v12, s0
	v_cmp_le_u32_e32 vcc_lo, s24, v15
	v_cmp_eq_u32_e64 s0, s25, v4
	v_cndmask_b32_e64 v15, 0, -1, vcc_lo
	v_cmp_le_u32_e32 vcc_lo, s25, v12
	v_cndmask_b32_e64 v16, 0, -1, vcc_lo
	v_cmp_le_u32_e32 vcc_lo, s24, v3
	;; [unrolled: 2-line block ×3, first 2 shown]
	v_cndmask_b32_e64 v17, 0, -1, vcc_lo
	v_cmp_eq_u32_e32 vcc_lo, s25, v12
	v_cndmask_b32_e64 v3, v17, v3, s0
	v_cndmask_b32_e32 v12, v16, v15, vcc_lo
	v_add_co_u32 v15, vcc_lo, v8, 1
	v_add_co_ci_u32_e32 v16, vcc_lo, 0, v11, vcc_lo
	v_cmp_ne_u32_e32 vcc_lo, 0, v12
	v_cndmask_b32_e32 v4, v16, v14, vcc_lo
	v_cndmask_b32_e32 v12, v15, v13, vcc_lo
	v_cmp_ne_u32_e32 vcc_lo, 0, v3
	v_cndmask_b32_e32 v4, v11, v4, vcc_lo
	v_cndmask_b32_e32 v3, v8, v12, vcc_lo
.LBB0_4:                                ;   in Loop: Header=BB0_2 Depth=1
	s_andn2_saveexec_b32 s0, s1
	s_cbranch_execz .LBB0_6
; %bb.5:                                ;   in Loop: Header=BB0_2 Depth=1
	v_cvt_f32_u32_e32 v3, s24
	s_sub_i32 s1, 0, s24
	v_rcp_iflag_f32_e32 v3, v3
	v_mul_f32_e32 v3, 0x4f7ffffe, v3
	v_cvt_u32_f32_e32 v3, v3
	v_mul_lo_u32 v4, s1, v3
	v_mul_hi_u32 v4, v3, v4
	v_add_nc_u32_e32 v3, v3, v4
	v_mul_hi_u32 v3, v9, v3
	v_mul_lo_u32 v4, v3, s24
	v_add_nc_u32_e32 v8, 1, v3
	v_sub_nc_u32_e32 v4, v9, v4
	v_subrev_nc_u32_e32 v11, s24, v4
	v_cmp_le_u32_e32 vcc_lo, s24, v4
	v_cndmask_b32_e32 v4, v4, v11, vcc_lo
	v_cndmask_b32_e32 v3, v3, v8, vcc_lo
	v_cmp_le_u32_e32 vcc_lo, s24, v4
	v_add_nc_u32_e32 v8, 1, v3
	v_mov_b32_e32 v4, v7
	v_cndmask_b32_e32 v3, v3, v8, vcc_lo
.LBB0_6:                                ;   in Loop: Header=BB0_2 Depth=1
	s_or_b32 exec_lo, exec_lo, s0
	v_mul_lo_u32 v8, v4, s24
	v_mul_lo_u32 v13, v3, s25
	s_load_dwordx2 s[0:1], s[6:7], 0x0
	v_mad_u64_u32 v[11:12], null, v3, s24, 0
	s_load_dwordx2 s[24:25], s[2:3], 0x0
	s_add_u32 s22, s22, 1
	s_addc_u32 s23, s23, 0
	s_add_u32 s2, s2, 8
	s_addc_u32 s3, s3, 0
	s_add_u32 s6, s6, 8
	v_add3_u32 v8, v12, v13, v8
	v_sub_co_u32 v9, vcc_lo, v9, v11
	s_addc_u32 s7, s7, 0
	s_add_u32 s20, s20, 8
	v_sub_co_ci_u32_e32 v8, vcc_lo, v10, v8, vcc_lo
	s_addc_u32 s21, s21, 0
	s_waitcnt lgkmcnt(0)
	v_mul_lo_u32 v10, s0, v8
	v_mul_lo_u32 v11, s1, v9
	v_mad_u64_u32 v[5:6], null, s0, v9, v[5:6]
	v_mul_lo_u32 v8, s24, v8
	v_mul_lo_u32 v12, s25, v9
	v_mad_u64_u32 v[1:2], null, s24, v9, v[1:2]
	v_cmp_ge_u64_e64 s0, s[22:23], s[14:15]
	v_add3_u32 v6, v11, v6, v10
	v_add3_u32 v2, v12, v2, v8
	s_and_b32 vcc_lo, exec_lo, s0
	s_cbranch_vccnz .LBB0_9
; %bb.7:                                ;   in Loop: Header=BB0_2 Depth=1
	v_mov_b32_e32 v10, v4
	v_mov_b32_e32 v9, v3
	s_branch .LBB0_2
.LBB0_8:
	v_mov_b32_e32 v1, v5
	v_mov_b32_e32 v3, v9
	;; [unrolled: 1-line block ×4, first 2 shown]
.LBB0_9:
	s_load_dwordx2 s[0:1], s[4:5], 0x28
	v_mul_hi_u32 v26, 0x2302303, v0
	s_lshl_b64 s[4:5], s[14:15], 3
                                        ; implicit-def: $vgpr9
	s_add_u32 s2, s18, s4
	s_addc_u32 s3, s19, s5
	s_waitcnt lgkmcnt(0)
	v_cmp_gt_u64_e32 vcc_lo, s[0:1], v[3:4]
	v_cmp_le_u64_e64 s0, s[0:1], v[3:4]
	s_and_saveexec_b32 s1, s0
	s_xor_b32 s0, exec_lo, s1
; %bb.10:
	v_mul_u32_u24_e32 v5, 0x75, v26
                                        ; implicit-def: $vgpr26
	v_sub_nc_u32_e32 v9, v0, v5
                                        ; implicit-def: $vgpr0
                                        ; implicit-def: $vgpr5_vgpr6
; %bb.11:
	s_or_saveexec_b32 s1, s0
                                        ; implicit-def: $vgpr12
                                        ; implicit-def: $vgpr10
                                        ; implicit-def: $vgpr25
                                        ; implicit-def: $vgpr20
                                        ; implicit-def: $vgpr24
                                        ; implicit-def: $vgpr23
                                        ; implicit-def: $vgpr8
                                        ; implicit-def: $vgpr11
                                        ; implicit-def: $vgpr22
                                        ; implicit-def: $vgpr17
                                        ; implicit-def: $vgpr21
                                        ; implicit-def: $vgpr18
                                        ; implicit-def: $vgpr7
                                        ; implicit-def: $vgpr13
                                        ; implicit-def: $vgpr16
                                        ; implicit-def: $vgpr15
                                        ; implicit-def: $vgpr19
                                        ; implicit-def: $vgpr14
	s_xor_b32 exec_lo, exec_lo, s1
	s_cbranch_execz .LBB0_13
; %bb.12:
	s_add_u32 s4, s16, s4
	s_addc_u32 s5, s17, s5
	v_lshlrev_b64 v[5:6], 2, v[5:6]
	s_load_dwordx2 s[4:5], s[4:5], 0x0
	s_waitcnt lgkmcnt(0)
	v_mul_lo_u32 v9, s5, v3
	v_mul_lo_u32 v10, s4, v4
	v_mad_u64_u32 v[7:8], null, s4, v3, 0
	v_add3_u32 v8, v8, v10, v9
	v_mul_u32_u24_e32 v9, 0x75, v26
	v_lshlrev_b64 v[7:8], 2, v[7:8]
	v_sub_nc_u32_e32 v9, v0, v9
	v_add_co_u32 v0, s0, s8, v7
	v_add_co_ci_u32_e64 v7, s0, s9, v8, s0
	v_lshlrev_b32_e32 v8, 2, v9
	v_add_co_u32 v0, s0, v0, v5
	v_add_co_ci_u32_e64 v6, s0, v7, v6, s0
	v_add_co_u32 v5, s0, v0, v8
	v_add_co_ci_u32_e64 v6, s0, 0, v6, s0
	;; [unrolled: 2-line block ×3, first 2 shown]
	s_clause 0x8
	global_load_dword v10, v[5:6], off
	global_load_dword v11, v[5:6], off offset:468
	global_load_dword v20, v[5:6], off offset:1404
	;; [unrolled: 1-line block ×8, first 2 shown]
	s_waitcnt vmcnt(8)
	v_lshrrev_b32_e32 v12, 16, v10
	s_waitcnt vmcnt(7)
	v_lshrrev_b32_e32 v8, 16, v11
	s_waitcnt vmcnt(6)
	v_lshrrev_b32_e32 v25, 16, v20
	s_waitcnt vmcnt(5)
	v_lshrrev_b32_e32 v22, 16, v17
	s_waitcnt vmcnt(4)
	v_lshrrev_b32_e32 v21, 16, v18
	s_waitcnt vmcnt(3)
	v_lshrrev_b32_e32 v24, 16, v23
	s_waitcnt vmcnt(2)
	v_lshrrev_b32_e32 v19, 16, v14
	s_waitcnt vmcnt(1)
	v_lshrrev_b32_e32 v7, 16, v13
	s_waitcnt vmcnt(0)
	v_lshrrev_b32_e32 v16, 16, v15
.LBB0_13:
	s_or_b32 exec_lo, exec_lo, s1
	v_add_f16_e32 v0, v20, v23
	v_add_f16_e32 v26, v25, v24
	;; [unrolled: 1-line block ×3, first 2 shown]
	v_sub_f16_e32 v6, v25, v24
	v_sub_f16_e32 v20, v20, v23
	v_fmac_f16_e32 v10, -0.5, v0
	v_add_f16_e32 v0, v12, v25
	v_fmac_f16_e32 v12, -0.5, v26
	v_add_f16_e32 v5, v5, v23
	v_add_f16_e32 v25, v11, v17
	v_fmamk_f16 v23, v6, 0xbaee, v10
	v_fmac_f16_e32 v10, 0x3aee, v6
	v_add_f16_e32 v6, v0, v24
	v_add_f16_e32 v0, v17, v18
	v_fmamk_f16 v24, v20, 0x3aee, v12
	v_fmac_f16_e32 v12, 0xbaee, v20
	v_add_f16_e32 v20, v22, v21
	v_sub_f16_e32 v17, v17, v18
	v_fmac_f16_e32 v11, -0.5, v0
	v_sub_f16_e32 v0, v22, v21
	v_add_f16_e32 v22, v8, v22
	v_fmac_f16_e32 v8, -0.5, v20
	v_add_f16_e32 v25, v25, v18
	s_load_dwordx2 s[2:3], s[2:3], 0x0
	v_fmamk_f16 v18, v0, 0xbaee, v11
	v_fmac_f16_e32 v11, 0x3aee, v0
	v_add_f16_e32 v0, v15, v14
	v_add_f16_e32 v20, v22, v21
	v_fmamk_f16 v21, v17, 0x3aee, v8
	v_fmac_f16_e32 v8, 0xbaee, v17
	v_add_f16_e32 v17, v16, v19
	v_add_f16_e32 v22, v13, v14
	v_fmac_f16_e32 v13, -0.5, v0
	v_sub_f16_e32 v0, v19, v16
	v_add_f16_e32 v19, v7, v19
	v_fmac_f16_e32 v7, -0.5, v17
	v_mad_u32_u24 v17, v9, 6, 0
	v_add_f16_e32 v22, v15, v22
	v_sub_f16_e32 v14, v14, v15
	v_fmamk_f16 v15, v0, 0xbaee, v13
	v_fmac_f16_e32 v13, 0x3aee, v0
	v_lshlrev_b32_e32 v0, 2, v9
	ds_write_b16 v17, v5
	ds_write_b16 v17, v23 offset:2
	ds_write_b16 v17, v10 offset:4
	v_and_b32_e32 v5, 0xff, v9
	v_add_nc_u32_e32 v10, 0x75, v9
	ds_write_b16 v17, v25 offset:702
	ds_write_b16 v17, v18 offset:704
	v_sub_nc_u32_e32 v0, v17, v0
	v_add_f16_e32 v16, v16, v19
	v_mul_lo_u16 v18, 0xab, v5
	v_fmamk_f16 v26, v14, 0x3aee, v7
	v_fmac_f16_e32 v7, 0xbaee, v14
	ds_write_b16 v17, v11 offset:706
	ds_write_b16 v17, v22 offset:1404
	;; [unrolled: 1-line block ×4, first 2 shown]
	s_waitcnt lgkmcnt(0)
	s_barrier
	buffer_gl0_inv
	ds_read_u16 v15, v0
	ds_read_u16 v13, v0 offset:234
	ds_read_u16 v22, v0 offset:936
	;; [unrolled: 1-line block ×8, first 2 shown]
	s_waitcnt lgkmcnt(0)
	s_barrier
	buffer_gl0_inv
	ds_write_b16 v17, v6
	ds_write_b16 v17, v24 offset:2
	ds_write_b16 v17, v12 offset:4
	v_and_b32_e32 v12, 0xff, v10
	v_add_nc_u32_e32 v11, 0xea, v9
	v_lshrrev_b16 v6, 9, v18
	v_mov_b32_e32 v18, 0xaaab
	ds_write_b16 v17, v20 offset:702
	v_mul_lo_u16 v12, 0xab, v12
	ds_write_b16 v17, v21 offset:704
	ds_write_b16 v17, v8 offset:706
	;; [unrolled: 1-line block ×4, first 2 shown]
	v_mul_u32_u24_sdwa v16, v11, v18 dst_sel:DWORD dst_unused:UNUSED_PAD src0_sel:WORD_0 src1_sel:DWORD
	v_mul_lo_u16 v8, v6, 3
	v_lshrrev_b16 v12, 9, v12
	ds_write_b16 v17, v7 offset:1408
	v_mov_b32_e32 v18, 3
	v_lshrrev_b32_e32 v7, 17, v16
	v_sub_nc_u16 v8, v9, v8
	v_mul_lo_u16 v16, v12, 3
	s_waitcnt lgkmcnt(0)
	s_barrier
	v_mul_lo_u16 v20, v7, 3
	v_lshlrev_b32_sdwa v17, v18, v8 dst_sel:DWORD dst_unused:UNUSED_PAD src0_sel:DWORD src1_sel:BYTE_0
	v_sub_nc_u16 v21, v10, v16
	buffer_gl0_inv
	v_mov_b32_e32 v32, 1
	v_sub_nc_u16 v20, v11, v20
	global_load_dwordx2 v[16:17], v17, s[12:13]
	v_lshlrev_b32_sdwa v23, v18, v21 dst_sel:DWORD dst_unused:UNUSED_PAD src0_sel:DWORD src1_sel:BYTE_0
	v_mul_u32_u24_e32 v36, 18, v7
	v_lshlrev_b32_sdwa v7, v32, v8 dst_sel:DWORD dst_unused:UNUSED_PAD src0_sel:DWORD src1_sel:BYTE_0
	v_lshlrev_b32_sdwa v18, v18, v20 dst_sel:DWORD dst_unused:UNUSED_PAD src0_sel:DWORD src1_sel:WORD_0
	s_clause 0x1
	global_load_dwordx2 v[25:26], v23, s[12:13]
	global_load_dwordx2 v[28:29], v18, s[12:13]
	ds_read_u16 v35, v0 offset:702
	ds_read_u16 v37, v0 offset:1404
	ds_read_u16 v23, v0
	ds_read_u16 v18, v0 offset:234
	ds_read_u16 v38, v0 offset:936
	;; [unrolled: 1-line block ×5, first 2 shown]
	v_lshlrev_b32_sdwa v8, v32, v20 dst_sel:DWORD dst_unused:UNUSED_PAD src0_sel:DWORD src1_sel:WORD_0
	ds_read_u16 v20, v0 offset:1872
	v_mov_b32_e32 v34, 18
	v_lshlrev_b32_sdwa v21, v32, v21 dst_sel:DWORD dst_unused:UNUSED_PAD src0_sel:DWORD src1_sel:BYTE_0
	v_cmp_gt_u32_e64 s0, 0x51, v9
	s_waitcnt vmcnt(0) lgkmcnt(0)
	s_barrier
	v_mul_u32_u24_sdwa v6, v6, v34 dst_sel:DWORD dst_unused:UNUSED_PAD src0_sel:WORD_0 src1_sel:DWORD
	v_mul_u32_u24_sdwa v12, v12, v34 dst_sel:DWORD dst_unused:UNUSED_PAD src0_sel:WORD_0 src1_sel:DWORD
	buffer_gl0_inv
	v_add3_u32 v7, 0, v6, v7
	v_add3_u32 v6, 0, v36, v8
	;; [unrolled: 1-line block ×3, first 2 shown]
	v_mul_f16_sdwa v32, v35, v16 dst_sel:DWORD dst_unused:UNUSED_PAD src0_sel:DWORD src1_sel:WORD_1
	v_mul_f16_sdwa v36, v31, v16 dst_sel:DWORD dst_unused:UNUSED_PAD src0_sel:DWORD src1_sel:WORD_1
	;; [unrolled: 1-line block ×4, first 2 shown]
	v_fmac_f16_e32 v32, v31, v16
	v_fma_f16 v36, v35, v16, -v36
	v_fmac_f16_e32 v34, v14, v17
	v_fma_f16 v14, v37, v17, -v39
	v_mul_f16_sdwa v12, v38, v25 dst_sel:DWORD dst_unused:UNUSED_PAD src0_sel:DWORD src1_sel:WORD_1
	v_mul_f16_sdwa v17, v40, v26 dst_sel:DWORD dst_unused:UNUSED_PAD src0_sel:DWORD src1_sel:WORD_1
	;; [unrolled: 1-line block ×8, first 2 shown]
	v_fmac_f16_e32 v12, v22, v25
	v_fmac_f16_e32 v17, v27, v26
	;; [unrolled: 1-line block ×3, first 2 shown]
	v_add_f16_e32 v27, v32, v34
	v_fmac_f16_e32 v21, v33, v29
	v_fma_f16 v39, v38, v25, -v31
	v_fma_f16 v22, v40, v26, -v35
	;; [unrolled: 1-line block ×3, first 2 shown]
	v_add_f16_e32 v26, v15, v32
	v_fma_f16 v25, v20, v29, -v42
	v_fmac_f16_e32 v15, -0.5, v27
	v_add_f16_e32 v27, v12, v17
	v_add_f16_e32 v35, v16, v21
	v_sub_f16_e32 v29, v36, v14
	v_add_f16_e32 v20, v26, v34
	v_add_f16_e32 v26, v13, v12
	v_sub_f16_e32 v33, v39, v22
	v_add_f16_e32 v31, v19, v16
	v_sub_f16_e32 v37, v28, v25
	v_fmac_f16_e32 v13, -0.5, v27
	v_fmac_f16_e32 v19, -0.5, v35
	v_fmamk_f16 v30, v29, 0xbaee, v15
	v_fmac_f16_e32 v15, 0x3aee, v29
	v_add_f16_e32 v26, v26, v17
	v_add_f16_e32 v27, v31, v21
	v_fmamk_f16 v31, v33, 0xbaee, v13
	v_fmac_f16_e32 v13, 0x3aee, v33
	v_fmamk_f16 v29, v37, 0xbaee, v19
	v_fmac_f16_e32 v19, 0x3aee, v37
	ds_write_b16 v7, v20
	ds_write_b16 v7, v30 offset:6
	ds_write_b16 v7, v15 offset:12
	ds_write_b16 v8, v26
	ds_write_b16 v8, v31 offset:6
	ds_write_b16 v8, v13 offset:12
	;; [unrolled: 3-line block ×3, first 2 shown]
	s_waitcnt lgkmcnt(0)
	s_barrier
	buffer_gl0_inv
                                        ; implicit-def: $vgpr33
                                        ; implicit-def: $vgpr35
                                        ; implicit-def: $vgpr37
                                        ; implicit-def: $vgpr38
	s_and_saveexec_b32 s1, s0
	s_cbranch_execz .LBB0_15
; %bb.14:
	ds_read_u16 v20, v0
	ds_read_u16 v30, v0 offset:162
	ds_read_u16 v15, v0 offset:324
	ds_read_u16 v26, v0 offset:486
	ds_read_u16 v31, v0 offset:648
	ds_read_u16 v13, v0 offset:810
	ds_read_u16 v27, v0 offset:972
	ds_read_u16 v29, v0 offset:1134
	ds_read_u16 v19, v0 offset:1296
	ds_read_u16 v38, v0 offset:1458
	ds_read_u16 v37, v0 offset:1620
	ds_read_u16 v35, v0 offset:1782
	ds_read_u16 v33, v0 offset:1944
.LBB0_15:
	s_or_b32 exec_lo, exec_lo, s1
	v_add_f16_e32 v40, v36, v14
	v_add_f16_e32 v36, v23, v36
	v_sub_f16_e32 v32, v32, v34
	v_add_f16_e32 v34, v39, v22
	v_add_f16_e32 v39, v18, v39
	v_fmac_f16_e32 v23, -0.5, v40
	v_add_f16_e32 v40, v28, v25
	v_sub_f16_e32 v12, v12, v17
	v_fmac_f16_e32 v18, -0.5, v34
	v_add_f16_e32 v17, v24, v28
	v_sub_f16_e32 v16, v16, v21
	v_fmac_f16_e32 v24, -0.5, v40
	v_add_f16_e32 v14, v36, v14
	v_fmamk_f16 v36, v32, 0x3aee, v23
	v_fmac_f16_e32 v23, 0xbaee, v32
	v_add_f16_e32 v44, v39, v22
	v_fmamk_f16 v43, v12, 0x3aee, v18
	v_fmac_f16_e32 v18, 0xbaee, v12
	;; [unrolled: 3-line block ×3, first 2 shown]
	s_waitcnt lgkmcnt(0)
	s_barrier
	buffer_gl0_inv
	ds_write_b16 v7, v14
	ds_write_b16 v7, v36 offset:6
	ds_write_b16 v7, v23 offset:12
	ds_write_b16 v8, v44
	ds_write_b16 v8, v43 offset:6
	ds_write_b16 v8, v18 offset:12
	;; [unrolled: 3-line block ×3, first 2 shown]
	s_waitcnt lgkmcnt(0)
	s_barrier
	buffer_gl0_inv
                                        ; implicit-def: $vgpr45
                                        ; implicit-def: $vgpr46
                                        ; implicit-def: $vgpr47
                                        ; implicit-def: $vgpr48
	s_and_saveexec_b32 s1, s0
	s_cbranch_execz .LBB0_17
; %bb.16:
	ds_read_u16 v14, v0
	ds_read_u16 v36, v0 offset:162
	ds_read_u16 v23, v0 offset:324
	;; [unrolled: 1-line block ×12, first 2 shown]
.LBB0_17:
	s_or_b32 exec_lo, exec_lo, s1
	v_mul_lo_u16 v5, v5, 57
	v_mov_b32_e32 v7, 12
	v_lshrrev_b16 v5, 9, v5
	v_mul_lo_u16 v6, v5, 9
	v_sub_nc_u16 v6, v9, v6
	v_mul_u32_u24_sdwa v7, v6, v7 dst_sel:DWORD dst_unused:UNUSED_PAD src0_sel:BYTE_0 src1_sel:DWORD
	v_lshlrev_b32_e32 v7, 2, v7
	s_clause 0x2
	global_load_dwordx4 v[49:52], v7, s[12:13] offset:24
	global_load_dwordx4 v[53:56], v7, s[12:13] offset:40
	;; [unrolled: 1-line block ×3, first 2 shown]
	s_waitcnt vmcnt(0) lgkmcnt(0)
	s_barrier
	buffer_gl0_inv
	v_mul_f16_sdwa v32, v36, v49 dst_sel:DWORD dst_unused:UNUSED_PAD src0_sel:DWORD src1_sel:WORD_1
	v_mul_f16_sdwa v41, v30, v49 dst_sel:DWORD dst_unused:UNUSED_PAD src0_sel:DWORD src1_sel:WORD_1
	;; [unrolled: 1-line block ×21, first 2 shown]
	v_fmac_f16_e32 v32, v30, v49
	v_mul_f16_sdwa v30, v35, v59 dst_sel:DWORD dst_unused:UNUSED_PAD src0_sel:DWORD src1_sel:WORD_1
	v_fma_f16 v41, v36, v49, -v41
	v_mul_f16_sdwa v42, v45, v60 dst_sel:DWORD dst_unused:UNUSED_PAD src0_sel:DWORD src1_sel:WORD_1
	v_mul_f16_sdwa v49, v33, v60 dst_sel:DWORD dst_unused:UNUSED_PAD src0_sel:DWORD src1_sel:WORD_1
	v_fmac_f16_e32 v28, v15, v50
	v_fma_f16 v36, v23, v50, -v61
	v_fmac_f16_e32 v22, v26, v51
	v_fma_f16 v26, v44, v51, -v62
	;; [unrolled: 2-line block ×11, first 2 shown]
	s_and_saveexec_b32 s1, s0
	s_cbranch_execz .LBB0_19
; %bb.18:
	v_sub_f16_e32 v35, v41, v29
	v_add_f16_e32 v33, v32, v42
	v_sub_f16_e32 v38, v36, v30
	v_add_f16_e32 v37, v28, v34
	v_sub_f16_e32 v40, v26, v27
	v_mul_f16_e32 v49, 0xb3a8, v35
	v_add_f16_e32 v39, v22, v25
	v_mul_f16_e32 v50, 0x3770, v38
	v_sub_f16_e32 v44, v23, v24
	v_mul_f16_e32 v51, 0xb94e, v40
	v_fma_f16 v58, v33, 0xbbc4, -v49
	v_fmac_f16_e32 v49, 0xbbc4, v33
	v_fma_f16 v59, v37, 0x3b15, -v50
	v_mul_f16_e32 v55, 0xb94e, v35
	v_fma_f16 v60, v39, 0xb9fd, -v51
	v_add_f16_e32 v58, v20, v58
	v_fmac_f16_e32 v50, 0x3b15, v37
	v_add_f16_e32 v49, v20, v49
	v_add_f16_e32 v43, v17, v21
	v_sub_f16_e32 v46, v18, v19
	v_add_f16_e32 v58, v59, v58
	v_mul_f16_e32 v52, 0x3a95, v44
	v_mul_f16_e32 v56, 0x3bf1, v38
	v_fmac_f16_e32 v51, 0xb9fd, v39
	v_add_f16_e32 v49, v50, v49
	v_add_f16_e32 v50, v60, v58
	v_fma_f16 v58, v33, 0xb9fd, -v55
	v_add_f16_e32 v45, v12, v16
	v_sub_f16_e32 v48, v13, v15
	v_mul_f16_e32 v53, 0xbb7b, v46
	v_mul_f16_e32 v57, 0xba95, v40
	v_fma_f16 v61, v43, 0x388b, -v52
	v_fmac_f16_e32 v52, 0x388b, v43
	v_fma_f16 v59, v37, 0x2fb7, -v56
	v_add_f16_e32 v49, v51, v49
	v_add_f16_e32 v51, v20, v58
	;; [unrolled: 1-line block ×3, first 2 shown]
	v_mul_f16_e32 v54, 0x3bf1, v48
	v_fma_f16 v62, v45, 0xb5ac, -v53
	v_fmac_f16_e32 v53, 0xb5ac, v45
	v_add_f16_e32 v49, v52, v49
	v_add_f16_e32 v51, v59, v51
	v_fma_f16 v52, v39, 0x388b, -v57
	v_mul_f16_e32 v58, 0x33a8, v44
	v_fma_f16 v63, v47, 0x2fb7, -v54
	v_add_f16_e32 v49, v53, v49
	v_fmac_f16_e32 v55, 0xb9fd, v33
	v_add_f16_e32 v51, v52, v51
	v_fma_f16 v52, v43, 0xbbc4, -v58
	v_mul_f16_e32 v53, 0x3770, v46
	v_fmac_f16_e32 v54, 0x2fb7, v47
	v_add_f16_e32 v55, v20, v55
	v_fmac_f16_e32 v56, 0x2fb7, v37
	v_add_f16_e32 v51, v52, v51
	v_fma_f16 v52, v45, 0x3b15, -v53
	v_add_f16_e32 v49, v54, v49
	v_mul_f16_e32 v54, 0xbb7b, v35
	v_add_f16_e32 v55, v56, v55
	v_fmac_f16_e32 v57, 0x388b, v39
	v_add_f16_e32 v51, v52, v51
	v_mul_f16_e32 v52, 0xbb7b, v48
	v_fma_f16 v56, v33, 0xb5ac, -v54
	v_mul_f16_e32 v59, 0x394e, v38
	v_add_f16_e32 v50, v61, v50
	v_add_f16_e32 v55, v57, v55
	v_fmac_f16_e32 v58, 0xbbc4, v43
	v_fma_f16 v57, v47, 0xb5ac, -v52
	v_add_f16_e32 v56, v20, v56
	v_fma_f16 v60, v37, 0xb9fd, -v59
	v_mul_f16_e32 v61, 0x3770, v40
	v_add_f16_e32 v55, v58, v55
	v_fmac_f16_e32 v53, 0x3b15, v45
	v_add_f16_e32 v51, v57, v51
	v_add_f16_e32 v56, v60, v56
	v_fma_f16 v57, v39, 0x3b15, -v61
	v_mul_f16_e32 v58, 0xbbf1, v44
	v_add_f16_e32 v53, v53, v55
	v_fmac_f16_e32 v52, 0xb5ac, v47
	v_fmac_f16_e32 v54, 0xb5ac, v33
	v_add_f16_e32 v55, v57, v56
	v_fma_f16 v56, v43, 0x2fb7, -v58
	v_mul_f16_e32 v57, 0x33a8, v46
	v_add_f16_e32 v52, v52, v53
	v_add_f16_e32 v53, v20, v54
	v_fmac_f16_e32 v59, 0xb9fd, v37
	v_add_f16_e32 v54, v56, v55
	v_fma_f16 v55, v45, 0xbbc4, -v57
	v_mul_f16_e32 v56, 0x3a95, v48
	v_mul_f16_e32 v60, 0xbbf1, v35
	v_add_f16_e32 v50, v62, v50
	v_add_f16_e32 v53, v59, v53
	v_fmac_f16_e32 v61, 0x3b15, v39
	v_add_f16_e32 v54, v55, v54
	v_fma_f16 v55, v47, 0x388b, -v56
	v_fma_f16 v59, v33, 0x2fb7, -v60
	v_mul_f16_e32 v62, 0xb3a8, v38
	v_add_f16_e32 v31, v20, v32
	v_add_f16_e32 v53, v61, v53
	v_fmac_f16_e32 v58, 0x2fb7, v43
	v_add_f16_e32 v54, v55, v54
	v_add_f16_e32 v55, v20, v59
	v_fma_f16 v59, v37, 0xbbc4, -v62
	v_mul_f16_e32 v61, 0x3b7b, v40
	v_fmac_f16_e32 v60, 0x2fb7, v33
	v_add_f16_e32 v31, v31, v28
	v_add_f16_e32 v53, v58, v53
	v_fmac_f16_e32 v57, 0xbbc4, v45
	v_add_f16_e32 v55, v59, v55
	v_fma_f16 v58, v39, 0xb5ac, -v61
	v_mul_f16_e32 v59, 0x3770, v44
	v_add_f16_e32 v60, v20, v60
	v_fmac_f16_e32 v62, 0xbbc4, v37
	v_add_f16_e32 v31, v31, v22
	v_add_f16_e32 v53, v57, v53
	v_fmac_f16_e32 v56, 0x388b, v47
	v_add_f16_e32 v55, v58, v55
	v_fma_f16 v57, v43, 0x3b15, -v59
	v_add_f16_e32 v58, v62, v60
	v_fmac_f16_e32 v61, 0xb5ac, v39
	v_mul_f16_e32 v60, 0xba95, v35
	v_add_f16_e32 v31, v31, v17
	v_add_f16_e32 v53, v56, v53
	v_mul_f16_e32 v56, 0xba95, v46
	v_add_f16_e32 v55, v57, v55
	v_add_f16_e32 v57, v61, v58
	v_fmac_f16_e32 v59, 0x3b15, v43
	v_fma_f16 v61, v33, 0x388b, -v60
	v_mul_f16_e32 v62, 0xbb7b, v38
	v_fmac_f16_e32 v60, 0x388b, v33
	v_add_f16_e32 v31, v31, v12
	v_fma_f16 v58, v45, 0x388b, -v56
	v_add_f16_e32 v57, v59, v57
	v_fmac_f16_e32 v56, 0x388b, v45
	v_add_f16_e32 v59, v20, v61
	v_fma_f16 v61, v37, 0xb5ac, -v62
	v_mul_f16_e32 v64, 0xb3a8, v40
	v_add_f16_e32 v60, v20, v60
	v_fmac_f16_e32 v62, 0xb5ac, v37
	v_mul_f16_e32 v35, 0xb770, v35
	v_add_f16_e32 v31, v31, v7
	v_add_f16_e32 v56, v56, v57
	;; [unrolled: 1-line block ×3, first 2 shown]
	v_fma_f16 v59, v39, 0xbbc4, -v64
	v_add_f16_e32 v60, v62, v60
	v_fmac_f16_e32 v64, 0xbbc4, v39
	v_mul_f16_e32 v38, 0xba95, v38
	v_fma_f16 v65, v33, 0x3b15, -v35
	v_fmac_f16_e32 v35, 0x3b15, v33
	v_add_f16_e32 v31, v31, v8
	v_add_f16_e32 v33, v64, v60
	v_fma_f16 v60, v37, 0x388b, -v38
	v_mul_f16_e32 v40, 0xbbf1, v40
	v_add_f16_e32 v35, v20, v35
	v_fmac_f16_e32 v38, 0x388b, v37
	v_add_f16_e32 v50, v63, v50
	v_mul_f16_e32 v63, 0xb94e, v48
	v_add_f16_e32 v31, v31, v16
	v_mul_f16_e32 v61, 0x394e, v44
	v_add_f16_e32 v20, v20, v65
	v_fma_f16 v37, v39, 0x2fb7, -v40
	v_mul_f16_e32 v44, 0xbb7b, v44
	v_add_f16_e32 v35, v38, v35
	v_fmac_f16_e32 v40, 0x2fb7, v39
	v_add_f16_e32 v55, v58, v55
	v_fma_f16 v58, v47, 0xb9fd, -v63
	v_add_f16_e32 v31, v31, v21
	v_add_f16_e32 v20, v60, v20
	v_fma_f16 v38, v43, 0xb5ac, -v44
	v_mul_f16_e32 v39, 0xb94e, v46
	v_add_f16_e32 v35, v40, v35
	v_fmac_f16_e32 v44, 0xb5ac, v43
	v_fmac_f16_e32 v63, 0xb9fd, v47
	v_add_f16_e32 v55, v58, v55
	v_add_f16_e32 v57, v59, v57
	v_fma_f16 v58, v43, 0xb9fd, -v61
	v_mul_f16_e32 v59, 0x3bf1, v46
	v_fmac_f16_e32 v61, 0xb9fd, v43
	v_add_f16_e32 v31, v31, v25
	v_add_f16_e32 v20, v37, v20
	v_fma_f16 v37, v45, 0xb9fd, -v39
	v_add_f16_e32 v35, v44, v35
	v_fmac_f16_e32 v39, 0xb9fd, v45
	v_mov_b32_e32 v43, 0xea
	v_mov_b32_e32 v44, 1
	v_mul_f16_e32 v40, 0xb3a8, v48
	v_add_f16_e32 v56, v63, v56
	v_add_f16_e32 v57, v58, v57
	v_mul_f16_e32 v58, 0x3770, v48
	v_fma_f16 v63, v45, 0x2fb7, -v59
	v_add_f16_e32 v33, v61, v33
	v_fmac_f16_e32 v59, 0x2fb7, v45
	v_add_f16_e32 v31, v31, v34
	v_add_f16_e32 v20, v38, v20
	;; [unrolled: 1-line block ×3, first 2 shown]
	v_mul_u32_u24_sdwa v39, v5, v43 dst_sel:DWORD dst_unused:UNUSED_PAD src0_sel:WORD_0 src1_sel:DWORD
	v_lshlrev_b32_sdwa v43, v44, v6 dst_sel:DWORD dst_unused:UNUSED_PAD src0_sel:DWORD src1_sel:BYTE_0
	v_fma_f16 v38, v47, 0xbbc4, -v40
	v_fmac_f16_e32 v40, 0xbbc4, v47
	v_fma_f16 v62, v47, 0x3b15, -v58
	v_add_f16_e32 v33, v59, v33
	v_fmac_f16_e32 v58, 0x3b15, v47
	v_add_f16_e32 v31, v31, v42
	v_add_f16_e32 v44, v63, v57
	;; [unrolled: 1-line block ×3, first 2 shown]
	v_add3_u32 v37, 0, v39, v43
	v_add_f16_e32 v35, v40, v35
	v_add_f16_e32 v33, v58, v33
	;; [unrolled: 1-line block ×4, first 2 shown]
	ds_write_b16 v37, v31
	ds_write_b16 v37, v35 offset:18
	ds_write_b16 v37, v33 offset:36
	;; [unrolled: 1-line block ×12, first 2 shown]
.LBB0_19:
	s_or_b32 exec_lo, exec_lo, s1
	s_waitcnt lgkmcnt(0)
	s_barrier
	buffer_gl0_inv
	ds_read_u16 v33, v0
	ds_read_u16 v31, v0 offset:234
	ds_read_u16 v39, v0 offset:936
	;; [unrolled: 1-line block ×8, first 2 shown]
	s_waitcnt lgkmcnt(0)
	s_barrier
	buffer_gl0_inv
	s_and_saveexec_b32 s1, s0
	s_cbranch_execz .LBB0_21
; %bb.20:
	v_add_f16_e32 v44, v14, v41
	v_sub_f16_e32 v28, v28, v34
	v_add_f16_e32 v41, v41, v29
	v_sub_f16_e32 v32, v32, v42
	v_add_f16_e32 v42, v36, v30
	v_add_f16_e32 v34, v44, v36
	v_sub_f16_e32 v22, v22, v25
	v_mul_f16_e32 v44, 0x388b, v41
	v_mul_f16_e32 v36, 0x3b15, v41
	;; [unrolled: 1-line block ×3, first 2 shown]
	v_add_f16_e32 v34, v34, v26
	v_mul_f16_e32 v45, 0x2fb7, v41
	v_fmamk_f16 v53, v32, 0x3a95, v44
	v_fmac_f16_e32 v44, 0xba95, v32
	v_mul_f16_e32 v46, 0xb5ac, v41
	v_add_f16_e32 v34, v34, v23
	v_mul_f16_e32 v47, 0xb9fd, v41
	v_mul_f16_e32 v41, 0xbbc4, v41
	v_fmamk_f16 v58, v28, 0x3b7b, v49
	v_fmac_f16_e32 v49, 0xbb7b, v28
	v_add_f16_e32 v34, v34, v18
	v_add_f16_e32 v44, v14, v44
	v_mul_f16_e32 v48, 0x388b, v42
	v_mul_f16_e32 v50, 0xbbc4, v42
	v_fmamk_f16 v52, v32, 0x3770, v36
	v_add_f16_e32 v34, v34, v13
	v_fmac_f16_e32 v36, 0xb770, v32
	v_fmamk_f16 v54, v32, 0x3bf1, v45
	v_fmac_f16_e32 v45, 0xbbf1, v32
	v_fmamk_f16 v55, v32, 0x3b7b, v46
	v_add_f16_e32 v34, v34, v15
	v_fmac_f16_e32 v46, 0xbb7b, v32
	v_fmamk_f16 v56, v32, 0x394e, v47
	v_fmac_f16_e32 v47, 0xb94e, v32
	v_fmamk_f16 v57, v32, 0x33a8, v41
	v_add_f16_e32 v34, v34, v19
	v_fmac_f16_e32 v41, 0xb3a8, v32
	v_add_f16_e32 v44, v49, v44
	v_mul_f16_e32 v49, 0x2fb7, v42
	v_add_f16_e32 v26, v26, v27
	v_add_f16_e32 v34, v34, v24
	v_mul_f16_e32 v51, 0xb9fd, v42
	v_fmamk_f16 v32, v28, 0x3a95, v48
	v_fmac_f16_e32 v48, 0xba95, v28
	v_add_f16_e32 v52, v14, v52
	v_add_f16_e32 v34, v34, v27
	;; [unrolled: 1-line block ×13, first 2 shown]
	v_fmamk_f16 v41, v28, 0x33a8, v50
	v_fmac_f16_e32 v50, 0xb3a8, v28
	v_fmamk_f16 v27, v28, 0xbbf1, v49
	v_mul_f16_e32 v42, 0x3b15, v42
	v_fmac_f16_e32 v49, 0x3bf1, v28
	v_mul_f16_e32 v25, 0x2fb7, v26
	v_add_f16_e32 v32, v32, v52
	v_add_f16_e32 v36, v48, v36
	v_fmamk_f16 v48, v28, 0xb94e, v51
	v_fmac_f16_e32 v51, 0x394e, v28
	v_add_f16_e32 v45, v50, v45
	v_fmamk_f16 v50, v28, 0xb770, v42
	v_fmac_f16_e32 v42, 0x3770, v28
	v_add_f16_e32 v28, v49, v47
	v_fmamk_f16 v47, v22, 0x3bf1, v25
	v_mul_f16_e32 v49, 0xbbc4, v26
	v_add_f16_e32 v29, v30, v29
	v_add_f16_e32 v30, v58, v53
	;; [unrolled: 1-line block ×4, first 2 shown]
	v_fmamk_f16 v42, v22, 0x33a8, v49
	v_mul_f16_e32 v47, 0xb5ac, v26
	v_add_f16_e32 v41, v41, v54
	v_fmac_f16_e32 v25, 0xbbf1, v22
	v_add_f16_e32 v23, v23, v24
	v_add_f16_e32 v30, v42, v30
	v_fmamk_f16 v42, v22, 0xbb7b, v47
	v_add_f16_e32 v27, v27, v56
	v_fmac_f16_e32 v49, 0xb3a8, v22
	v_add_f16_e32 v25, v25, v36
	v_mul_f16_e32 v36, 0x3b15, v26
	v_add_f16_e32 v41, v42, v41
	v_mul_f16_e32 v42, 0x388b, v26
	v_mul_f16_e32 v26, 0xb9fd, v26
	v_sub_f16_e32 v17, v17, v21
	v_mul_f16_e32 v21, 0xb5ac, v23
	v_add_f16_e32 v44, v49, v44
	v_fmamk_f16 v24, v22, 0x3a95, v42
	v_fmac_f16_e32 v42, 0xba95, v22
	v_fmac_f16_e32 v47, 0x3b7b, v22
	v_fmamk_f16 v49, v22, 0xb770, v36
	v_fmac_f16_e32 v36, 0x3770, v22
	v_add_f16_e32 v24, v24, v27
	v_fmamk_f16 v27, v22, 0x394e, v26
	v_fmac_f16_e32 v26, 0xb94e, v22
	v_add_f16_e32 v22, v42, v28
	v_fmamk_f16 v28, v17, 0x3b7b, v21
	v_mul_f16_e32 v42, 0xb9fd, v23
	v_fmac_f16_e32 v21, 0xbb7b, v17
	v_add_f16_e32 v14, v26, v14
	v_add_f16_e32 v46, v51, v46
	;; [unrolled: 1-line block ×3, first 2 shown]
	v_fmamk_f16 v28, v17, 0xb94e, v42
	v_mul_f16_e32 v32, 0x3b15, v23
	v_add_f16_e32 v34, v50, v34
	v_fmac_f16_e32 v42, 0x394e, v17
	v_add_f16_e32 v21, v21, v25
	v_add_f16_e32 v28, v28, v30
	v_fmamk_f16 v30, v17, 0xb770, v32
	v_mul_f16_e32 v25, 0x2fb7, v23
	v_add_f16_e32 v18, v18, v19
	v_add_f16_e32 v36, v36, v46
	;; [unrolled: 1-line block ×4, first 2 shown]
	v_mul_f16_e32 v41, 0xbbc4, v23
	v_add_f16_e32 v34, v42, v44
	v_fmamk_f16 v42, v17, 0x3bf1, v25
	v_fmac_f16_e32 v25, 0xbbf1, v17
	v_mul_f16_e32 v23, 0x388b, v23
	v_fmamk_f16 v19, v17, 0xb3a8, v41
	v_sub_f16_e32 v12, v12, v16
	v_mul_f16_e32 v16, 0xb9fd, v18
	v_fmac_f16_e32 v32, 0x3770, v17
	v_add_f16_e32 v25, v25, v36
	v_fmac_f16_e32 v41, 0x33a8, v17
	v_add_f16_e32 v19, v19, v24
	v_fmamk_f16 v24, v17, 0xba95, v23
	v_fmac_f16_e32 v23, 0x3a95, v17
	v_fmamk_f16 v17, v12, 0x394e, v16
	v_mul_f16_e32 v36, 0x2fb7, v18
	v_fmac_f16_e32 v16, 0xb94e, v12
	v_add_f16_e32 v24, v24, v27
	v_add_f16_e32 v14, v23, v14
	;; [unrolled: 1-line block ×3, first 2 shown]
	v_fmamk_f16 v23, v12, 0xbbf1, v36
	v_mul_f16_e32 v26, 0x388b, v18
	v_add_f16_e32 v16, v16, v21
	v_fmac_f16_e32 v36, 0x3bf1, v12
	v_mul_f16_e32 v21, 0xbbc4, v18
	v_add_f16_e32 v23, v23, v28
	v_fmamk_f16 v27, v12, 0x3a95, v26
	v_add_f16_e32 v13, v13, v15
	v_add_f16_e32 v28, v36, v34
	v_fmamk_f16 v34, v12, 0xb3a8, v21
	v_fmac_f16_e32 v21, 0x33a8, v12
	v_mul_f16_e32 v15, 0xb5ac, v18
	v_add_f16_e32 v45, v47, v45
	v_add_f16_e32 v27, v27, v30
	v_mul_f16_e32 v30, 0x3b15, v18
	v_add_f16_e32 v21, v21, v25
	v_fmamk_f16 v25, v12, 0x3b7b, v15
	v_fmac_f16_e32 v15, 0xbb7b, v12
	v_add_f16_e32 v32, v32, v45
	v_add_f16_e32 v22, v41, v22
	v_fmac_f16_e32 v26, 0xba95, v12
	v_fmamk_f16 v18, v12, 0xb770, v30
	v_fmac_f16_e32 v30, 0x3770, v12
	v_sub_f16_e32 v7, v7, v8
	v_mul_f16_e32 v8, 0xbbc4, v13
	v_add_f16_e32 v14, v15, v14
	v_mul_f16_e32 v15, 0xb9fd, v13
	v_add_f16_e32 v48, v48, v55
	v_add_f16_e32 v26, v26, v32
	;; [unrolled: 1-line block ×4, first 2 shown]
	v_fmamk_f16 v12, v7, 0x33a8, v8
	v_add_f16_e32 v22, v25, v24
	v_fmac_f16_e32 v8, 0xb3a8, v7
	v_mul_f16_e32 v24, 0x3b15, v13
	v_fmamk_f16 v25, v7, 0x394e, v15
	v_fmac_f16_e32 v15, 0xb94e, v7
	v_add_f16_e32 v47, v49, v48
	v_add_f16_e32 v12, v12, v17
	;; [unrolled: 1-line block ×3, first 2 shown]
	v_fmamk_f16 v16, v7, 0xb770, v24
	v_mul_f16_e32 v17, 0x388b, v13
	v_fmac_f16_e32 v24, 0x3770, v7
	v_add_f16_e32 v25, v25, v27
	v_add_f16_e32 v15, v15, v26
	v_mov_b32_e32 v26, 0xea
	v_mov_b32_e32 v27, 1
	v_add_f16_e32 v42, v42, v47
	v_add_f16_e32 v16, v16, v23
	v_fmamk_f16 v23, v7, 0xba95, v17
	v_add_f16_e32 v24, v24, v28
	v_fmac_f16_e32 v17, 0x3a95, v7
	v_mul_f16_e32 v28, 0xb5ac, v13
	v_mul_f16_e32 v13, 0x2fb7, v13
	v_mul_u32_u24_sdwa v5, v5, v26 dst_sel:DWORD dst_unused:UNUSED_PAD src0_sel:WORD_0 src1_sel:DWORD
	v_lshlrev_b32_sdwa v6, v27, v6 dst_sel:DWORD dst_unused:UNUSED_PAD src0_sel:DWORD src1_sel:BYTE_0
	v_add_f16_e32 v32, v34, v42
	v_add_f16_e32 v17, v17, v21
	v_fmamk_f16 v21, v7, 0x3b7b, v28
	v_fmac_f16_e32 v28, 0xbb7b, v7
	v_fmamk_f16 v26, v7, 0xbbf1, v13
	v_fmac_f16_e32 v13, 0x3bf1, v7
	v_add3_u32 v5, 0, v5, v6
	v_add_f16_e32 v23, v23, v32
	v_add_f16_e32 v6, v21, v18
	;; [unrolled: 1-line block ×5, first 2 shown]
	ds_write_b16 v5, v29
	ds_write_b16 v5, v12 offset:18
	ds_write_b16 v5, v16 offset:36
	;; [unrolled: 1-line block ×12, first 2 shown]
.LBB0_21:
	s_or_b32 exec_lo, exec_lo, s1
	v_lshlrev_b32_e32 v5, 1, v9
	v_mov_b32_e32 v6, 0
	s_waitcnt lgkmcnt(0)
	s_barrier
	buffer_gl0_inv
	v_lshlrev_b64 v[7:8], 2, v[5:6]
	v_mov_b32_e32 v5, 0x8c09
	v_mul_u32_u24_sdwa v5, v11, v5 dst_sel:DWORD dst_unused:UNUSED_PAD src0_sel:WORD_0 src1_sel:DWORD
	v_add_co_u32 v7, s0, s12, v7
	v_add_co_ci_u32_e64 v8, s0, s13, v8, s0
	v_lshrrev_b32_e32 v5, 22, v5
	global_load_dwordx2 v[12:13], v[7:8], off offset:456
	v_mul_lo_u16 v5, 0x75, v5
	v_sub_nc_u16 v5, v11, v5
	v_and_b32_e32 v5, 0xffff, v5
	v_lshlrev_b32_e32 v14, 3, v5
	v_lshl_add_u32 v5, v5, 1, 0
	global_load_dwordx2 v[14:15], v14, s[12:13] offset:456
	ds_read_u16 v16, v0 offset:702
	ds_read_u16 v17, v0 offset:1404
	;; [unrolled: 1-line block ×4, first 2 shown]
	ds_read_u16 v21, v0
	ds_read_u16 v22, v0 offset:234
	ds_read_u16 v23, v0 offset:1170
	ds_read_u16 v24, v0 offset:468
	ds_read_u16 v25, v0 offset:1872
	s_waitcnt vmcnt(0) lgkmcnt(0)
	s_barrier
	buffer_gl0_inv
	v_mul_f16_sdwa v26, v16, v12 dst_sel:DWORD dst_unused:UNUSED_PAD src0_sel:DWORD src1_sel:WORD_1
	v_mul_f16_sdwa v27, v43, v12 dst_sel:DWORD dst_unused:UNUSED_PAD src0_sel:DWORD src1_sel:WORD_1
	;; [unrolled: 1-line block ×8, first 2 shown]
	v_fmac_f16_e32 v26, v43, v12
	v_fma_f16 v16, v16, v12, -v27
	v_fmac_f16_e32 v28, v40, v13
	v_fma_f16 v17, v17, v13, -v29
	v_fmac_f16_e32 v30, v39, v12
	v_fma_f16 v12, v18, v12, -v32
	v_fmac_f16_e32 v34, v38, v13
	v_fma_f16 v13, v19, v13, -v36
	v_add_f16_e32 v18, v33, v26
	v_add_f16_e32 v29, v21, v16
	;; [unrolled: 1-line block ×4, first 2 shown]
	v_sub_f16_e32 v38, v12, v13
	v_add_f16_e32 v12, v12, v13
	v_sub_f16_e32 v27, v16, v17
	v_add_f16_e32 v16, v16, v17
	;; [unrolled: 2-line block ×3, first 2 shown]
	v_add_f16_e32 v28, v29, v17
	v_fmac_f16_e32 v22, -0.5, v12
	v_mul_f16_sdwa v12, v23, v14 dst_sel:DWORD dst_unused:UNUSED_PAD src0_sel:DWORD src1_sel:WORD_1
	v_mul_f16_sdwa v17, v25, v15 dst_sel:DWORD dst_unused:UNUSED_PAD src0_sel:DWORD src1_sel:WORD_1
	v_add_f16_e32 v32, v31, v30
	v_fmac_f16_e32 v33, -0.5, v19
	v_add_f16_e32 v29, v39, v13
	v_mul_f16_sdwa v13, v35, v14 dst_sel:DWORD dst_unused:UNUSED_PAD src0_sel:DWORD src1_sel:WORD_1
	v_mul_f16_sdwa v19, v37, v15 dst_sel:DWORD dst_unused:UNUSED_PAD src0_sel:DWORD src1_sel:WORD_1
	v_fmac_f16_e32 v12, v35, v14
	v_fmac_f16_e32 v17, v37, v15
	v_add_f16_e32 v36, v30, v34
	v_fmac_f16_e32 v21, -0.5, v16
	v_add_f16_e32 v16, v32, v34
	v_fma_f16 v13, v23, v14, -v13
	v_fma_f16 v23, v25, v15, -v19
	v_add_f16_e32 v14, v12, v17
	v_fmac_f16_e32 v31, -0.5, v36
	v_add_f16_e32 v15, v20, v12
	ds_write_b16 v0, v16 offset:702
	v_sub_f16_e32 v16, v13, v23
	v_fmac_f16_e32 v20, -0.5, v14
	v_fmamk_f16 v32, v27, 0xbaee, v33
	v_fmac_f16_e32 v33, 0x3aee, v27
	v_fmamk_f16 v27, v26, 0x3aee, v21
	v_fmac_f16_e32 v21, 0xbaee, v26
	v_fmamk_f16 v26, v38, 0xbaee, v31
	v_fmac_f16_e32 v31, 0x3aee, v38
	v_add_f16_e32 v25, v24, v13
	v_add_f16_e32 v13, v13, v23
	;; [unrolled: 1-line block ×3, first 2 shown]
	v_fmamk_f16 v15, v16, 0xbaee, v20
	v_fmac_f16_e32 v20, 0x3aee, v16
	ds_write_b16 v0, v18
	ds_write_b16 v0, v32 offset:234
	ds_write_b16 v0, v33 offset:468
	;; [unrolled: 1-line block ×4, first 2 shown]
	v_sub_f16_e32 v26, v12, v17
	v_fmac_f16_e32 v24, -0.5, v13
	ds_write_b16 v5, v14 offset:1404
	ds_write_b16 v5, v15 offset:1638
	;; [unrolled: 1-line block ×3, first 2 shown]
	s_waitcnt lgkmcnt(0)
	s_barrier
	buffer_gl0_inv
	ds_read_u16 v13, v0
	ds_read_u16 v14, v0 offset:234
	ds_read_u16 v16, v0 offset:936
	;; [unrolled: 1-line block ×8, first 2 shown]
	v_sub_f16_e32 v30, v30, v34
	v_add_f16_e32 v23, v25, v23
	v_fmamk_f16 v25, v26, 0x3aee, v24
	v_fmac_f16_e32 v24, 0xbaee, v26
	s_waitcnt lgkmcnt(0)
	v_fmamk_f16 v34, v30, 0x3aee, v22
	v_fmac_f16_e32 v22, 0xbaee, v30
	s_barrier
	buffer_gl0_inv
	ds_write_b16 v0, v28
	ds_write_b16 v0, v27 offset:234
	ds_write_b16 v0, v21 offset:468
	;; [unrolled: 1-line block ×8, first 2 shown]
	s_waitcnt lgkmcnt(0)
	s_barrier
	buffer_gl0_inv
	s_and_saveexec_b32 s0, vcc_lo
	s_cbranch_execz .LBB0_23
; %bb.22:
	v_lshlrev_b32_e32 v5, 1, v11
	v_add_nc_u32_e32 v23, 0x75, v9
	v_add_nc_u32_e32 v26, 0xea, v9
	v_mul_lo_u32 v24, s3, v3
	v_mul_lo_u32 v25, s2, v4
	v_lshlrev_b64 v[21:22], 2, v[5:6]
	v_lshlrev_b32_e32 v5, 1, v10
	v_mul_hi_u32 v27, 0x756cac21, v23
	v_mul_hi_u32 v29, 0x756cac21, v26
	v_mad_u64_u32 v[3:4], null, s2, v3, 0
	v_add_co_u32 v10, vcc_lo, s12, v21
	v_add_co_ci_u32_e32 v11, vcc_lo, s13, v22, vcc_lo
	v_lshlrev_b64 v[21:22], 2, v[5:6]
	v_mul_hi_u32 v5, 0x756cac21, v9
	v_sub_nc_u32_e32 v30, v23, v27
	global_load_dwordx2 v[10:11], v[10:11], off offset:1392
	v_sub_nc_u32_e32 v31, v26, v29
	v_add3_u32 v4, v4, v25, v24
	v_add_co_u32 v21, vcc_lo, s12, v21
	v_add_co_ci_u32_e32 v22, vcc_lo, s13, v22, vcc_lo
	v_sub_nc_u32_e32 v28, v9, v5
	s_clause 0x1
	global_load_dwordx2 v[21:22], v[21:22], off offset:1392
	global_load_dwordx2 v[7:8], v[7:8], off offset:1392
	v_lshlrev_b64 v[3:4], 2, v[3:4]
	v_lshrrev_b32_e32 v28, 1, v28
	ds_read_u16 v33, v0 offset:1872
	ds_read_u16 v34, v0 offset:1638
	;; [unrolled: 1-line block ×8, first 2 shown]
	ds_read_u16 v41, v0
	v_add_nc_u32_e32 v5, v28, v5
	v_lshrrev_b32_e32 v28, 1, v30
	v_lshrrev_b32_e32 v30, 1, v31
	v_lshlrev_b64 v[0:1], 2, v[1:2]
	v_add_co_u32 v3, vcc_lo, s10, v3
	v_lshrrev_b32_e32 v5, 8, v5
	v_add_nc_u32_e32 v27, v28, v27
	v_add_nc_u32_e32 v25, v30, v29
	v_add_co_ci_u32_e32 v4, vcc_lo, s11, v4, vcc_lo
	v_mul_u32_u24_e32 v5, 0x15f, v5
	v_lshrrev_b32_e32 v27, 8, v27
	v_lshrrev_b32_e32 v31, 8, v25
	v_mov_b32_e32 v2, v6
	v_mov_b32_e32 v24, v6
	v_sub_nc_u32_e32 v5, v9, v5
	v_mul_u32_u24_e32 v9, 0x15f, v27
	v_mul_u32_u24_e32 v25, 0x15f, v31
	v_lshlrev_b32_e32 v28, 2, v5
	v_sub_nc_u32_e32 v5, v23, v9
	v_add_co_u32 v9, vcc_lo, v3, v0
	v_add_co_ci_u32_e32 v42, vcc_lo, v4, v1, vcc_lo
	v_mad_u32_u24 v5, 0x41d, v27, v5
	v_sub_nc_u32_e32 v23, v26, v25
	v_add_co_u32 v3, vcc_lo, v9, v28
	v_add_co_ci_u32_e32 v4, vcc_lo, 0, v42, vcc_lo
	v_lshlrev_b64 v[25:26], 2, v[5:6]
	v_add_nc_u32_e32 v1, 0x15f, v5
	v_add_nc_u32_e32 v5, 0x2be, v5
	v_add_co_u32 v27, vcc_lo, 0x800, v3
	v_add_co_ci_u32_e32 v28, vcc_lo, 0, v4, vcc_lo
	v_lshlrev_b64 v[29:30], 2, v[5:6]
	v_mad_u32_u24 v5, 0x41d, v31, v23
	v_lshlrev_b64 v[0:1], 2, v[1:2]
	v_add_co_u32 v25, vcc_lo, v9, v25
	v_add_co_ci_u32_e32 v26, vcc_lo, v42, v26, vcc_lo
	v_add_nc_u32_e32 v23, 0x15f, v5
	v_lshlrev_b64 v[31:32], 2, v[5:6]
	v_add_co_u32 v0, vcc_lo, v9, v0
	v_add_nc_u32_e32 v5, 0x2be, v5
	v_add_co_ci_u32_e32 v1, vcc_lo, v42, v1, vcc_lo
	v_add_co_u32 v29, vcc_lo, v9, v29
	v_lshlrev_b64 v[23:24], 2, v[23:24]
	v_add_co_ci_u32_e32 v30, vcc_lo, v42, v30, vcc_lo
	v_lshlrev_b64 v[5:6], 2, v[5:6]
	v_add_co_u32 v31, vcc_lo, v9, v31
	v_add_co_ci_u32_e32 v32, vcc_lo, v42, v32, vcc_lo
	v_add_co_u32 v23, vcc_lo, v9, v23
	v_add_co_ci_u32_e32 v24, vcc_lo, v42, v24, vcc_lo
	;; [unrolled: 2-line block ×3, first 2 shown]
	s_waitcnt vmcnt(2)
	v_mul_f16_sdwa v2, v20, v11 dst_sel:DWORD dst_unused:UNUSED_PAD src0_sel:DWORD src1_sel:WORD_1
	v_mul_f16_sdwa v43, v19, v10 dst_sel:DWORD dst_unused:UNUSED_PAD src0_sel:DWORD src1_sel:WORD_1
	s_waitcnt lgkmcnt(5)
	v_mul_f16_sdwa v44, v36, v10 dst_sel:DWORD dst_unused:UNUSED_PAD src0_sel:DWORD src1_sel:WORD_1
	v_mul_f16_sdwa v45, v33, v11 dst_sel:DWORD dst_unused:UNUSED_PAD src0_sel:DWORD src1_sel:WORD_1
	v_fma_f16 v2, v33, v11, -v2
	v_fma_f16 v9, v36, v10, -v43
	v_fmac_f16_e32 v44, v19, v10
	v_fmac_f16_e32 v45, v20, v11
	s_waitcnt vmcnt(1)
	v_mul_f16_sdwa v10, v16, v21 dst_sel:DWORD dst_unused:UNUSED_PAD src0_sel:DWORD src1_sel:WORD_1
	v_mul_f16_sdwa v11, v17, v22 dst_sel:DWORD dst_unused:UNUSED_PAD src0_sel:DWORD src1_sel:WORD_1
	s_waitcnt lgkmcnt(4)
	v_mul_f16_sdwa v19, v37, v21 dst_sel:DWORD dst_unused:UNUSED_PAD src0_sel:DWORD src1_sel:WORD_1
	v_mul_f16_sdwa v20, v34, v22 dst_sel:DWORD dst_unused:UNUSED_PAD src0_sel:DWORD src1_sel:WORD_1
	s_waitcnt vmcnt(0)
	v_mul_f16_sdwa v33, v18, v7 dst_sel:DWORD dst_unused:UNUSED_PAD src0_sel:DWORD src1_sel:WORD_1
	v_mul_f16_sdwa v36, v15, v8 dst_sel:DWORD dst_unused:UNUSED_PAD src0_sel:DWORD src1_sel:WORD_1
	s_waitcnt lgkmcnt(3)
	v_mul_f16_sdwa v42, v38, v7 dst_sel:DWORD dst_unused:UNUSED_PAD src0_sel:DWORD src1_sel:WORD_1
	v_mul_f16_sdwa v43, v35, v8 dst_sel:DWORD dst_unused:UNUSED_PAD src0_sel:DWORD src1_sel:WORD_1
	v_add_f16_e32 v47, v12, v44
	v_sub_f16_e32 v49, v44, v45
	v_add_f16_e32 v44, v45, v44
	v_fma_f16 v10, v37, v21, -v10
	v_fma_f16 v11, v34, v22, -v11
	v_fmac_f16_e32 v19, v16, v21
	v_fmac_f16_e32 v20, v17, v22
	v_fma_f16 v16, v38, v7, -v33
	v_fma_f16 v17, v35, v8, -v36
	v_fmac_f16_e32 v42, v18, v7
	v_fmac_f16_e32 v43, v15, v8
	s_waitcnt lgkmcnt(2)
	v_add_f16_e32 v46, v39, v9
	v_add_f16_e32 v48, v2, v9
	v_sub_f16_e32 v9, v9, v2
	v_fmac_f16_e32 v12, -0.5, v44
	v_add_f16_e32 v8, v10, v11
	v_add_f16_e32 v18, v19, v20
	;; [unrolled: 1-line block ×6, first 2 shown]
	v_sub_f16_e32 v15, v19, v20
	v_sub_f16_e32 v21, v10, v11
	s_waitcnt lgkmcnt(1)
	v_add_f16_e32 v10, v40, v10
	v_add_f16_e32 v19, v14, v19
	v_sub_f16_e32 v33, v42, v43
	v_sub_f16_e32 v35, v16, v17
	s_waitcnt lgkmcnt(0)
	v_add_f16_e32 v16, v41, v16
	v_add_f16_e32 v36, v13, v42
	v_fmamk_f16 v38, v9, 0x3aee, v12
	v_fmac_f16_e32 v12, 0xbaee, v9
	v_fma_f16 v8, -0.5, v8, v40
	v_fma_f16 v9, -0.5, v18, v14
	;; [unrolled: 1-line block ×4, first 2 shown]
	v_fmac_f16_e32 v39, -0.5, v48
	v_add_f16_e32 v10, v10, v11
	v_add_f16_e32 v11, v19, v20
	;; [unrolled: 1-line block ×4, first 2 shown]
	v_pack_b32_f16 v2, v7, v2
	v_fmamk_f16 v7, v15, 0xbaee, v8
	v_fmac_f16_e32 v8, 0x3aee, v15
	v_fmamk_f16 v15, v33, 0xbaee, v14
	v_fmamk_f16 v19, v35, 0x3aee, v13
	v_fmac_f16_e32 v14, 0x3aee, v33
	v_fmac_f16_e32 v13, 0xbaee, v35
	v_fmamk_f16 v18, v21, 0x3aee, v9
	v_fmac_f16_e32 v9, 0xbaee, v21
	v_fmamk_f16 v37, v49, 0xbaee, v39
	v_fmac_f16_e32 v39, 0x3aee, v49
	v_pack_b32_f16 v16, v17, v16
	v_pack_b32_f16 v13, v13, v14
	;; [unrolled: 1-line block ×8, first 2 shown]
	global_store_dword v[3:4], v16, off
	global_store_dword v[3:4], v13, off offset:1404
	global_store_dword v[27:28], v14, off offset:760
	global_store_dword v[25:26], v10, off
	global_store_dword v[0:1], v8, off
	;; [unrolled: 1-line block ×6, first 2 shown]
.LBB0_23:
	s_endpgm
	.section	.rodata,"a",@progbits
	.p2align	6, 0x0
	.amdhsa_kernel fft_rtc_back_len1053_factors_3_3_13_3_3_wgs_117_tpt_117_halfLds_half_op_CI_CI_unitstride_sbrr_dirReg
		.amdhsa_group_segment_fixed_size 0
		.amdhsa_private_segment_fixed_size 0
		.amdhsa_kernarg_size 104
		.amdhsa_user_sgpr_count 6
		.amdhsa_user_sgpr_private_segment_buffer 1
		.amdhsa_user_sgpr_dispatch_ptr 0
		.amdhsa_user_sgpr_queue_ptr 0
		.amdhsa_user_sgpr_kernarg_segment_ptr 1
		.amdhsa_user_sgpr_dispatch_id 0
		.amdhsa_user_sgpr_flat_scratch_init 0
		.amdhsa_user_sgpr_private_segment_size 0
		.amdhsa_wavefront_size32 1
		.amdhsa_uses_dynamic_stack 0
		.amdhsa_system_sgpr_private_segment_wavefront_offset 0
		.amdhsa_system_sgpr_workgroup_id_x 1
		.amdhsa_system_sgpr_workgroup_id_y 0
		.amdhsa_system_sgpr_workgroup_id_z 0
		.amdhsa_system_sgpr_workgroup_info 0
		.amdhsa_system_vgpr_workitem_id 0
		.amdhsa_next_free_vgpr 70
		.amdhsa_next_free_sgpr 27
		.amdhsa_reserve_vcc 1
		.amdhsa_reserve_flat_scratch 0
		.amdhsa_float_round_mode_32 0
		.amdhsa_float_round_mode_16_64 0
		.amdhsa_float_denorm_mode_32 3
		.amdhsa_float_denorm_mode_16_64 3
		.amdhsa_dx10_clamp 1
		.amdhsa_ieee_mode 1
		.amdhsa_fp16_overflow 0
		.amdhsa_workgroup_processor_mode 1
		.amdhsa_memory_ordered 1
		.amdhsa_forward_progress 0
		.amdhsa_shared_vgpr_count 0
		.amdhsa_exception_fp_ieee_invalid_op 0
		.amdhsa_exception_fp_denorm_src 0
		.amdhsa_exception_fp_ieee_div_zero 0
		.amdhsa_exception_fp_ieee_overflow 0
		.amdhsa_exception_fp_ieee_underflow 0
		.amdhsa_exception_fp_ieee_inexact 0
		.amdhsa_exception_int_div_zero 0
	.end_amdhsa_kernel
	.text
.Lfunc_end0:
	.size	fft_rtc_back_len1053_factors_3_3_13_3_3_wgs_117_tpt_117_halfLds_half_op_CI_CI_unitstride_sbrr_dirReg, .Lfunc_end0-fft_rtc_back_len1053_factors_3_3_13_3_3_wgs_117_tpt_117_halfLds_half_op_CI_CI_unitstride_sbrr_dirReg
                                        ; -- End function
	.section	.AMDGPU.csdata,"",@progbits
; Kernel info:
; codeLenInByte = 8680
; NumSgprs: 29
; NumVgprs: 70
; ScratchSize: 0
; MemoryBound: 0
; FloatMode: 240
; IeeeMode: 1
; LDSByteSize: 0 bytes/workgroup (compile time only)
; SGPRBlocks: 3
; VGPRBlocks: 8
; NumSGPRsForWavesPerEU: 29
; NumVGPRsForWavesPerEU: 70
; Occupancy: 12
; WaveLimiterHint : 1
; COMPUTE_PGM_RSRC2:SCRATCH_EN: 0
; COMPUTE_PGM_RSRC2:USER_SGPR: 6
; COMPUTE_PGM_RSRC2:TRAP_HANDLER: 0
; COMPUTE_PGM_RSRC2:TGID_X_EN: 1
; COMPUTE_PGM_RSRC2:TGID_Y_EN: 0
; COMPUTE_PGM_RSRC2:TGID_Z_EN: 0
; COMPUTE_PGM_RSRC2:TIDIG_COMP_CNT: 0
	.text
	.p2alignl 6, 3214868480
	.fill 48, 4, 3214868480
	.type	__hip_cuid_508ace9cb4cf854d,@object ; @__hip_cuid_508ace9cb4cf854d
	.section	.bss,"aw",@nobits
	.globl	__hip_cuid_508ace9cb4cf854d
__hip_cuid_508ace9cb4cf854d:
	.byte	0                               ; 0x0
	.size	__hip_cuid_508ace9cb4cf854d, 1

	.ident	"AMD clang version 19.0.0git (https://github.com/RadeonOpenCompute/llvm-project roc-6.4.0 25133 c7fe45cf4b819c5991fe208aaa96edf142730f1d)"
	.section	".note.GNU-stack","",@progbits
	.addrsig
	.addrsig_sym __hip_cuid_508ace9cb4cf854d
	.amdgpu_metadata
---
amdhsa.kernels:
  - .args:
      - .actual_access:  read_only
        .address_space:  global
        .offset:         0
        .size:           8
        .value_kind:     global_buffer
      - .offset:         8
        .size:           8
        .value_kind:     by_value
      - .actual_access:  read_only
        .address_space:  global
        .offset:         16
        .size:           8
        .value_kind:     global_buffer
      - .actual_access:  read_only
        .address_space:  global
        .offset:         24
        .size:           8
        .value_kind:     global_buffer
      - .actual_access:  read_only
        .address_space:  global
        .offset:         32
        .size:           8
        .value_kind:     global_buffer
      - .offset:         40
        .size:           8
        .value_kind:     by_value
      - .actual_access:  read_only
        .address_space:  global
        .offset:         48
        .size:           8
        .value_kind:     global_buffer
      - .actual_access:  read_only
        .address_space:  global
        .offset:         56
        .size:           8
        .value_kind:     global_buffer
      - .offset:         64
        .size:           4
        .value_kind:     by_value
      - .actual_access:  read_only
        .address_space:  global
        .offset:         72
        .size:           8
        .value_kind:     global_buffer
      - .actual_access:  read_only
        .address_space:  global
        .offset:         80
        .size:           8
        .value_kind:     global_buffer
      - .actual_access:  read_only
        .address_space:  global
        .offset:         88
        .size:           8
        .value_kind:     global_buffer
      - .actual_access:  write_only
        .address_space:  global
        .offset:         96
        .size:           8
        .value_kind:     global_buffer
    .group_segment_fixed_size: 0
    .kernarg_segment_align: 8
    .kernarg_segment_size: 104
    .language:       OpenCL C
    .language_version:
      - 2
      - 0
    .max_flat_workgroup_size: 117
    .name:           fft_rtc_back_len1053_factors_3_3_13_3_3_wgs_117_tpt_117_halfLds_half_op_CI_CI_unitstride_sbrr_dirReg
    .private_segment_fixed_size: 0
    .sgpr_count:     29
    .sgpr_spill_count: 0
    .symbol:         fft_rtc_back_len1053_factors_3_3_13_3_3_wgs_117_tpt_117_halfLds_half_op_CI_CI_unitstride_sbrr_dirReg.kd
    .uniform_work_group_size: 1
    .uses_dynamic_stack: false
    .vgpr_count:     70
    .vgpr_spill_count: 0
    .wavefront_size: 32
    .workgroup_processor_mode: 1
amdhsa.target:   amdgcn-amd-amdhsa--gfx1030
amdhsa.version:
  - 1
  - 2
...

	.end_amdgpu_metadata
